;; amdgpu-corpus repo=linkedin/Liger-Kernel kind=triton arch=gfx950 opt=O3 lang=triton
	.amdgcn_target "amdgcn-amd-amdhsa--gfx950"
	.amdhsa_code_object_version 5
	.text
	.globl	_geglu_tanh_forward_kernel      ; -- Begin function _geglu_tanh_forward_kernel
	.p2align	8
	.type	_geglu_tanh_forward_kernel,@function
_geglu_tanh_forward_kernel:             ; @_geglu_tanh_forward_kernel
.Lfunc_begin0:
	.cfi_sections .debug_frame
	.cfi_startproc
; %bb.65:
	.file	1 "/root/src/amdgpu-assembly/repos/linkedin__Liger-Kernel/triton_aot_kernels" "geglu_aot.py"
	.loc	1 10 0 prologue_end             ; geglu_aot.py:10:0
	s_load_dwordx2 s[2:3], s[0:1], 0x0
	s_load_dwordx8 s[4:11], s[0:1], 0x8
	s_load_dwordx2 s[12:13], s[0:1], 0x28
	s_waitcnt lgkmcnt(0)
	s_branch .LBB0_0
	.loc	1 0 0 is_stmt 0                 ; :0:0
.Ltmp0:
	.p2align	8
; %bb.66:
.LBB0_0:
.Ltmp1:
	.loc	1 18 31 is_stmt 1               ; geglu_aot.py:18:31
	v_readfirstlane_b32 s0, v0
	.loc	1 31 30                         ; geglu_aot.py:31:30
	s_and_b32 s10, s0, 0xc0
	.loc	1 14 22                         ; geglu_aot.py:14:22
	s_mul_hi_i32 s1, s8, s14
	s_mul_i32 s0, s8, s14
	.loc	1 14 9 is_stmt 0                ; geglu_aot.py:14:9
	s_lshl_b64 s[8:9], s[0:1], 1
	s_add_u32 s12, s2, s8
	s_addc_u32 s1, s3, s9
	.loc	1 15 9 is_stmt 1                ; geglu_aot.py:15:9
	s_add_u32 s0, s4, s8
	s_addc_u32 s2, s5, s9
	.loc	1 18 31                         ; geglu_aot.py:18:31
	v_and_or_b32 v0, v0, 63, s10
	s_mov_b32 s15, 0x27000
	s_mov_b32 s14, 0x7ffffffe
	.loc	1 20 20                         ; geglu_aot.py:20:20
	s_and_b32 s13, s1, 0xffff
	v_lshlrev_b32_e32 v32, 1, v0
	.loc	1 21 20                         ; geglu_aot.py:21:20
	s_and_b32 s1, s2, 0xffff
	s_mov_b32 s2, s14
	s_mov_b32 s3, s15
	.loc	1 20 20                         ; geglu_aot.py:20:20
	v_or_b32_e32 v33, 0x1000, v32
	.loc	1 21 20                         ; geglu_aot.py:21:20
	buffer_load_ushort v34, v32, s[0:3], 0 offen
	buffer_load_ushort v35, v32, s[0:3], 0 offen offset:512
	buffer_load_ushort v36, v32, s[0:3], 0 offen offset:1024
	;; [unrolled: 1-line block ×7, first 2 shown]
	buffer_load_ushort v42, v33, s[0:3], 0 offen
	buffer_load_ushort v43, v33, s[0:3], 0 offen offset:512
	buffer_load_ushort v44, v33, s[0:3], 0 offen offset:1024
	;; [unrolled: 1-line block ×7, first 2 shown]
	.loc	1 20 20                         ; geglu_aot.py:20:20
	buffer_load_ushort v16, v33, s[12:15], 0 offen
	buffer_load_ushort v17, v33, s[12:15], 0 offen offset:512
	buffer_load_ushort v20, v33, s[12:15], 0 offen offset:1024
	;; [unrolled: 1-line block ×7, first 2 shown]
	buffer_load_ushort v0, v32, s[12:15], 0 offen
	buffer_load_ushort v1, v32, s[12:15], 0 offen offset:512
	buffer_load_ushort v4, v32, s[12:15], 0 offen offset:1024
	;; [unrolled: 1-line block ×7, first 2 shown]
	s_mov_b32 s0, 0x3d372713
	s_mov_b32 s2, 0x3f4c422a
                                        ; implicit-def: $vgpr50
	.loc	1 20 60 is_stmt 0               ; geglu_aot.py:20:60
	s_waitcnt vmcnt(7)
	v_cvt_f32_f16_e32 v0, v0
	s_waitcnt vmcnt(6)
	v_cvt_f32_f16_e32 v1, v1
	.loc	1 26 22 is_stmt 1               ; geglu_aot.py:26:22
	v_pk_mul_f32 v[2:3], v[0:1], v[0:1]
	.loc	1 26 30 is_stmt 0               ; geglu_aot.py:26:30
	s_nop 0
	v_pk_mul_f32 v[2:3], v[2:3], v[0:1]
	.loc	1 27 41 is_stmt 1               ; geglu_aot.py:27:41
	s_nop 0
	v_pk_fma_f32 v[2:3], v[2:3], s[0:1], v[0:1] op_sel_hi:[1,0,1]
	s_mov_b32 s0, 0x3f200000
	.loc	1 27 33 is_stmt 0               ; geglu_aot.py:27:33
	v_pk_mul_f32 v[2:3], v[2:3], s[2:3] op_sel_hi:[1,0]
	.loc	1 28 23 is_stmt 1               ; geglu_aot.py:28:23
	s_nop 0
	v_cmp_nlt_f32_e64 s[0:1], |v2|, s0
	s_and_saveexec_b64 s[2:3], s[0:1]
	s_xor_b64 s[0:1], exec, s[2:3]
	s_cbranch_execz .LBB0_2
; %bb.1:
	v_add_f32_e64 v6, |v2|, |v2|
	s_mov_b32 s2, 0x3fb8aa3b
	v_mul_f32_e32 v7, 0x3fb8aa3b, v6
	v_fma_f32 v10, v6, s2, -v7
	v_rndne_f32_e32 v7, v7
	v_fmamk_f32 v10, v6, 0x32a5705f, v10
	v_fma_f32 v11, v6, s2, -v7
	v_add_f32_e32 v10, v11, v10
	v_exp_f32_e32 v10, v10
	v_cvt_i32_f32_e32 v7, v7
	s_mov_b32 s2, 0xc2ce8ed0
	v_cmp_ngt_f32_e32 vcc, s2, v6
	s_mov_b32 s2, 0x42b17218
	v_ldexp_f32 v7, v10, v7
	v_cndmask_b32_e32 v7, 0, v7, vcc
	v_mov_b32_e32 v10, 0x7f800000
	v_cmp_nlt_f32_e32 vcc, s2, v6
	s_nop 1
	v_cndmask_b32_e32 v6, v10, v7, vcc
	v_add_f32_e32 v6, 1.0, v6
	v_rcp_f32_e32 v6, v6
	s_nop 0
	v_fma_f32 v50, v6, -2.0, 1.0
.LBB0_2:                                ; %Flow15
	.loc	1 0 23 is_stmt 0                ; geglu_aot.py:0:23
	s_andn2_saveexec_b64 s[0:1], s[0:1]
; %bb.3:
	.loc	1 28 23 is_stmt 1               ; geglu_aot.py:28:23
	v_mul_f32_e32 v6, v2, v2
	v_mov_b32_e32 v7, 0x3ca908c9
	v_fmac_f32_e32 v7, 0xbbbac73d, v6
	v_fmaak_f32 v7, v6, v7, 0xbd5c1c4e
	v_fmaak_f32 v7, v6, v7, 0x3e088382
	;; [unrolled: 1-line block ×3, first 2 shown]
	v_mul_f32_e64 v7, |v2|, v7
	v_fma_f32 v50, v6, v7, |v2|
; %bb.4:                                ; %__ocml_tanh_f32.exit
	.loc	1 0 23 is_stmt 0                ; geglu_aot.py:0:23
	s_or_b64 exec, exec, s[0:1]
	s_mov_b32 s0, 0x3f200000
	.loc	1 28 23                         ; geglu_aot.py:28:23
	v_cmp_nlt_f32_e64 s[0:1], |v3|, s0
                                        ; implicit-def: $vgpr51
	s_and_saveexec_b64 s[2:3], s[0:1]
	s_xor_b64 s[0:1], exec, s[2:3]
	s_cbranch_execz .LBB0_6
; %bb.5:
	v_add_f32_e64 v6, |v3|, |v3|
	s_mov_b32 s2, 0x3fb8aa3b
	v_mul_f32_e32 v7, 0x3fb8aa3b, v6
	v_fma_f32 v10, v6, s2, -v7
	v_rndne_f32_e32 v7, v7
	v_fmamk_f32 v10, v6, 0x32a5705f, v10
	v_fma_f32 v11, v6, s2, -v7
	v_add_f32_e32 v10, v11, v10
	v_exp_f32_e32 v10, v10
	v_cvt_i32_f32_e32 v7, v7
	s_mov_b32 s2, 0xc2ce8ed0
	v_cmp_ngt_f32_e32 vcc, s2, v6
	s_mov_b32 s2, 0x42b17218
	v_ldexp_f32 v7, v10, v7
	v_cndmask_b32_e32 v7, 0, v7, vcc
	v_mov_b32_e32 v10, 0x7f800000
	v_cmp_nlt_f32_e32 vcc, s2, v6
	s_nop 1
	v_cndmask_b32_e32 v6, v10, v7, vcc
	v_add_f32_e32 v6, 1.0, v6
	v_rcp_f32_e32 v6, v6
	s_nop 0
	v_fma_f32 v51, v6, -2.0, 1.0
.LBB0_6:                                ; %Flow14
	.loc	1 0 23                          ; geglu_aot.py:0:23
	s_andn2_saveexec_b64 s[0:1], s[0:1]
; %bb.7:
	.loc	1 28 23 is_stmt 1               ; geglu_aot.py:28:23
	v_mul_f32_e32 v6, v3, v3
	v_mov_b32_e32 v7, 0x3ca908c9
	v_fmac_f32_e32 v7, 0xbbbac73d, v6
	v_fmaak_f32 v7, v6, v7, 0xbd5c1c4e
	v_fmaak_f32 v7, v6, v7, 0x3e088382
	;; [unrolled: 1-line block ×3, first 2 shown]
	v_mul_f32_e64 v7, |v3|, v7
	v_fma_f32 v51, v6, v7, |v3|
; %bb.8:                                ; %__ocml_tanh_f32.exit1
	.loc	1 0 23 is_stmt 0                ; geglu_aot.py:0:23
	s_or_b64 exec, exec, s[0:1]
	.loc	1 20 60 is_stmt 1               ; geglu_aot.py:20:60
	s_waitcnt vmcnt(4)
	v_cvt_f32_f16_e32 v5, v5
	v_cvt_f32_f16_e32 v4, v4
	s_mov_b32 s0, 0x3d372713
	s_mov_b32 s2, 0x3f4c422a
                                        ; implicit-def: $vgpr52
	.loc	1 26 22                         ; geglu_aot.py:26:22
	v_pk_mul_f32 v[6:7], v[4:5], v[4:5]
	.loc	1 26 30 is_stmt 0               ; geglu_aot.py:26:30
	s_nop 0
	v_pk_mul_f32 v[6:7], v[6:7], v[4:5]
	.loc	1 27 41 is_stmt 1               ; geglu_aot.py:27:41
	s_nop 0
	v_pk_fma_f32 v[6:7], v[6:7], s[0:1], v[4:5] op_sel_hi:[1,0,1]
	s_mov_b32 s0, 0x3f200000
	.loc	1 27 33 is_stmt 0               ; geglu_aot.py:27:33
	v_pk_mul_f32 v[6:7], v[6:7], s[2:3] op_sel_hi:[1,0]
	.loc	1 28 23 is_stmt 1               ; geglu_aot.py:28:23
	s_nop 0
	v_cmp_nlt_f32_e64 s[0:1], |v6|, s0
	s_and_saveexec_b64 s[2:3], s[0:1]
	s_xor_b64 s[0:1], exec, s[2:3]
	s_cbranch_execz .LBB0_10
; %bb.9:
	v_add_f32_e64 v10, |v6|, |v6|
	s_mov_b32 s2, 0x3fb8aa3b
	v_mul_f32_e32 v11, 0x3fb8aa3b, v10
	v_fma_f32 v14, v10, s2, -v11
	v_rndne_f32_e32 v11, v11
	v_fmamk_f32 v14, v10, 0x32a5705f, v14
	v_fma_f32 v15, v10, s2, -v11
	v_add_f32_e32 v14, v15, v14
	v_exp_f32_e32 v14, v14
	v_cvt_i32_f32_e32 v11, v11
	s_mov_b32 s2, 0xc2ce8ed0
	v_cmp_ngt_f32_e32 vcc, s2, v10
	s_mov_b32 s2, 0x42b17218
	v_ldexp_f32 v11, v14, v11
	v_cndmask_b32_e32 v11, 0, v11, vcc
	v_mov_b32_e32 v14, 0x7f800000
	v_cmp_nlt_f32_e32 vcc, s2, v10
	s_nop 1
	v_cndmask_b32_e32 v10, v14, v11, vcc
	v_add_f32_e32 v10, 1.0, v10
	v_rcp_f32_e32 v10, v10
	s_nop 0
	v_fma_f32 v52, v10, -2.0, 1.0
.LBB0_10:                               ; %Flow13
	.loc	1 0 23 is_stmt 0                ; geglu_aot.py:0:23
	s_andn2_saveexec_b64 s[0:1], s[0:1]
; %bb.11:
	.loc	1 28 23 is_stmt 1               ; geglu_aot.py:28:23
	v_mul_f32_e32 v10, v6, v6
	v_mov_b32_e32 v11, 0x3ca908c9
	v_fmac_f32_e32 v11, 0xbbbac73d, v10
	v_fmaak_f32 v11, v10, v11, 0xbd5c1c4e
	v_fmaak_f32 v11, v10, v11, 0x3e088382
	;; [unrolled: 1-line block ×3, first 2 shown]
	v_mul_f32_e64 v11, |v6|, v11
	v_fma_f32 v52, v10, v11, |v6|
; %bb.12:                               ; %__ocml_tanh_f32.exit2
	.loc	1 0 23 is_stmt 0                ; geglu_aot.py:0:23
	s_or_b64 exec, exec, s[0:1]
	s_mov_b32 s0, 0x3f200000
	.loc	1 28 23                         ; geglu_aot.py:28:23
	v_cmp_nlt_f32_e64 s[0:1], |v7|, s0
                                        ; implicit-def: $vgpr53
	s_and_saveexec_b64 s[2:3], s[0:1]
	s_xor_b64 s[0:1], exec, s[2:3]
	s_cbranch_execz .LBB0_14
; %bb.13:
	v_add_f32_e64 v10, |v7|, |v7|
	s_mov_b32 s2, 0x3fb8aa3b
	v_mul_f32_e32 v11, 0x3fb8aa3b, v10
	v_fma_f32 v14, v10, s2, -v11
	v_rndne_f32_e32 v11, v11
	v_fmamk_f32 v14, v10, 0x32a5705f, v14
	v_fma_f32 v15, v10, s2, -v11
	v_add_f32_e32 v14, v15, v14
	v_exp_f32_e32 v14, v14
	v_cvt_i32_f32_e32 v11, v11
	s_mov_b32 s2, 0xc2ce8ed0
	v_cmp_ngt_f32_e32 vcc, s2, v10
	s_mov_b32 s2, 0x42b17218
	v_ldexp_f32 v11, v14, v11
	v_cndmask_b32_e32 v11, 0, v11, vcc
	v_mov_b32_e32 v14, 0x7f800000
	v_cmp_nlt_f32_e32 vcc, s2, v10
	s_nop 1
	v_cndmask_b32_e32 v10, v14, v11, vcc
	v_add_f32_e32 v10, 1.0, v10
	v_rcp_f32_e32 v10, v10
	s_nop 0
	v_fma_f32 v53, v10, -2.0, 1.0
.LBB0_14:                               ; %Flow12
	.loc	1 0 23                          ; geglu_aot.py:0:23
	s_andn2_saveexec_b64 s[0:1], s[0:1]
; %bb.15:
	.loc	1 28 23 is_stmt 1               ; geglu_aot.py:28:23
	v_mul_f32_e32 v10, v7, v7
	v_mov_b32_e32 v11, 0x3ca908c9
	v_fmac_f32_e32 v11, 0xbbbac73d, v10
	v_fmaak_f32 v11, v10, v11, 0xbd5c1c4e
	v_fmaak_f32 v11, v10, v11, 0x3e088382
	;; [unrolled: 1-line block ×3, first 2 shown]
	v_mul_f32_e64 v11, |v7|, v11
	v_fma_f32 v53, v10, v11, |v7|
; %bb.16:                               ; %__ocml_tanh_f32.exit3
	.loc	1 0 23 is_stmt 0                ; geglu_aot.py:0:23
	s_or_b64 exec, exec, s[0:1]
	.loc	1 20 60 is_stmt 1               ; geglu_aot.py:20:60
	s_waitcnt vmcnt(2)
	v_cvt_f32_f16_e32 v9, v9
	v_cvt_f32_f16_e32 v8, v8
	s_mov_b32 s0, 0x3d372713
	s_mov_b32 s2, 0x3f4c422a
                                        ; implicit-def: $vgpr54
	.loc	1 26 22                         ; geglu_aot.py:26:22
	v_pk_mul_f32 v[10:11], v[8:9], v[8:9]
	.loc	1 26 30 is_stmt 0               ; geglu_aot.py:26:30
	s_nop 0
	v_pk_mul_f32 v[10:11], v[10:11], v[8:9]
	.loc	1 27 41 is_stmt 1               ; geglu_aot.py:27:41
	s_nop 0
	v_pk_fma_f32 v[10:11], v[10:11], s[0:1], v[8:9] op_sel_hi:[1,0,1]
	s_mov_b32 s0, 0x3f200000
	.loc	1 27 33 is_stmt 0               ; geglu_aot.py:27:33
	v_pk_mul_f32 v[10:11], v[10:11], s[2:3] op_sel_hi:[1,0]
	.loc	1 28 23 is_stmt 1               ; geglu_aot.py:28:23
	s_nop 0
	v_cmp_nlt_f32_e64 s[0:1], |v10|, s0
	s_and_saveexec_b64 s[2:3], s[0:1]
	s_xor_b64 s[0:1], exec, s[2:3]
	s_cbranch_execz .LBB0_18
; %bb.17:
	v_add_f32_e64 v14, |v10|, |v10|
	s_mov_b32 s2, 0x3fb8aa3b
	v_mul_f32_e32 v15, 0x3fb8aa3b, v14
	v_fma_f32 v18, v14, s2, -v15
	v_rndne_f32_e32 v15, v15
	v_fmamk_f32 v18, v14, 0x32a5705f, v18
	v_fma_f32 v19, v14, s2, -v15
	v_add_f32_e32 v18, v19, v18
	v_exp_f32_e32 v18, v18
	v_cvt_i32_f32_e32 v15, v15
	s_mov_b32 s2, 0xc2ce8ed0
	v_cmp_ngt_f32_e32 vcc, s2, v14
	s_mov_b32 s2, 0x42b17218
	v_ldexp_f32 v15, v18, v15
	v_cndmask_b32_e32 v15, 0, v15, vcc
	v_mov_b32_e32 v18, 0x7f800000
	v_cmp_nlt_f32_e32 vcc, s2, v14
	s_nop 1
	v_cndmask_b32_e32 v14, v18, v15, vcc
	v_add_f32_e32 v14, 1.0, v14
	v_rcp_f32_e32 v14, v14
	s_nop 0
	v_fma_f32 v54, v14, -2.0, 1.0
.LBB0_18:                               ; %Flow11
	.loc	1 0 23 is_stmt 0                ; geglu_aot.py:0:23
	s_andn2_saveexec_b64 s[0:1], s[0:1]
; %bb.19:
	.loc	1 28 23 is_stmt 1               ; geglu_aot.py:28:23
	v_mul_f32_e32 v14, v10, v10
	v_mov_b32_e32 v15, 0x3ca908c9
	v_fmac_f32_e32 v15, 0xbbbac73d, v14
	v_fmaak_f32 v15, v14, v15, 0xbd5c1c4e
	v_fmaak_f32 v15, v14, v15, 0x3e088382
	;; [unrolled: 1-line block ×3, first 2 shown]
	v_mul_f32_e64 v15, |v10|, v15
	v_fma_f32 v54, v14, v15, |v10|
; %bb.20:                               ; %__ocml_tanh_f32.exit4
	.loc	1 0 23 is_stmt 0                ; geglu_aot.py:0:23
	s_or_b64 exec, exec, s[0:1]
	s_mov_b32 s0, 0x3f200000
	.loc	1 28 23                         ; geglu_aot.py:28:23
	v_cmp_nlt_f32_e64 s[0:1], |v11|, s0
                                        ; implicit-def: $vgpr55
	s_and_saveexec_b64 s[2:3], s[0:1]
	s_xor_b64 s[0:1], exec, s[2:3]
	s_cbranch_execz .LBB0_22
; %bb.21:
	v_add_f32_e64 v14, |v11|, |v11|
	s_mov_b32 s2, 0x3fb8aa3b
	v_mul_f32_e32 v15, 0x3fb8aa3b, v14
	v_fma_f32 v18, v14, s2, -v15
	v_rndne_f32_e32 v15, v15
	v_fmamk_f32 v18, v14, 0x32a5705f, v18
	v_fma_f32 v19, v14, s2, -v15
	v_add_f32_e32 v18, v19, v18
	v_exp_f32_e32 v18, v18
	v_cvt_i32_f32_e32 v15, v15
	s_mov_b32 s2, 0xc2ce8ed0
	v_cmp_ngt_f32_e32 vcc, s2, v14
	s_mov_b32 s2, 0x42b17218
	v_ldexp_f32 v15, v18, v15
	v_cndmask_b32_e32 v15, 0, v15, vcc
	v_mov_b32_e32 v18, 0x7f800000
	v_cmp_nlt_f32_e32 vcc, s2, v14
	s_nop 1
	v_cndmask_b32_e32 v14, v18, v15, vcc
	v_add_f32_e32 v14, 1.0, v14
	v_rcp_f32_e32 v14, v14
	s_nop 0
	v_fma_f32 v55, v14, -2.0, 1.0
.LBB0_22:                               ; %Flow10
	.loc	1 0 23                          ; geglu_aot.py:0:23
	s_andn2_saveexec_b64 s[0:1], s[0:1]
; %bb.23:
	.loc	1 28 23 is_stmt 1               ; geglu_aot.py:28:23
	v_mul_f32_e32 v14, v11, v11
	v_mov_b32_e32 v15, 0x3ca908c9
	v_fmac_f32_e32 v15, 0xbbbac73d, v14
	v_fmaak_f32 v15, v14, v15, 0xbd5c1c4e
	v_fmaak_f32 v15, v14, v15, 0x3e088382
	;; [unrolled: 1-line block ×3, first 2 shown]
	v_mul_f32_e64 v15, |v11|, v15
	v_fma_f32 v55, v14, v15, |v11|
; %bb.24:                               ; %__ocml_tanh_f32.exit5
	.loc	1 0 23 is_stmt 0                ; geglu_aot.py:0:23
	s_or_b64 exec, exec, s[0:1]
	.loc	1 20 60 is_stmt 1               ; geglu_aot.py:20:60
	s_waitcnt vmcnt(0)
	v_cvt_f32_f16_e32 v13, v13
	v_cvt_f32_f16_e32 v12, v12
	s_mov_b32 s0, 0x3d372713
	s_mov_b32 s2, 0x3f4c422a
                                        ; implicit-def: $vgpr56
	.loc	1 26 22                         ; geglu_aot.py:26:22
	v_pk_mul_f32 v[14:15], v[12:13], v[12:13]
	.loc	1 26 30 is_stmt 0               ; geglu_aot.py:26:30
	s_nop 0
	v_pk_mul_f32 v[14:15], v[14:15], v[12:13]
	.loc	1 27 41 is_stmt 1               ; geglu_aot.py:27:41
	s_nop 0
	v_pk_fma_f32 v[14:15], v[14:15], s[0:1], v[12:13] op_sel_hi:[1,0,1]
	s_mov_b32 s0, 0x3f200000
	.loc	1 27 33 is_stmt 0               ; geglu_aot.py:27:33
	v_pk_mul_f32 v[14:15], v[14:15], s[2:3] op_sel_hi:[1,0]
	.loc	1 28 23 is_stmt 1               ; geglu_aot.py:28:23
	s_nop 0
	v_cmp_nlt_f32_e64 s[0:1], |v14|, s0
	s_and_saveexec_b64 s[2:3], s[0:1]
	s_xor_b64 s[0:1], exec, s[2:3]
	s_cbranch_execz .LBB0_26
; %bb.25:
	v_add_f32_e64 v18, |v14|, |v14|
	s_mov_b32 s2, 0x3fb8aa3b
	v_mul_f32_e32 v19, 0x3fb8aa3b, v18
	v_fma_f32 v22, v18, s2, -v19
	v_rndne_f32_e32 v19, v19
	v_fmamk_f32 v22, v18, 0x32a5705f, v22
	v_fma_f32 v23, v18, s2, -v19
	v_add_f32_e32 v22, v23, v22
	v_exp_f32_e32 v22, v22
	v_cvt_i32_f32_e32 v19, v19
	s_mov_b32 s2, 0xc2ce8ed0
	v_cmp_ngt_f32_e32 vcc, s2, v18
	s_mov_b32 s2, 0x42b17218
	v_ldexp_f32 v19, v22, v19
	v_cndmask_b32_e32 v19, 0, v19, vcc
	v_mov_b32_e32 v22, 0x7f800000
	v_cmp_nlt_f32_e32 vcc, s2, v18
	s_nop 1
	v_cndmask_b32_e32 v18, v22, v19, vcc
	v_add_f32_e32 v18, 1.0, v18
	v_rcp_f32_e32 v18, v18
	s_nop 0
	v_fma_f32 v56, v18, -2.0, 1.0
.LBB0_26:                               ; %Flow9
	.loc	1 0 23 is_stmt 0                ; geglu_aot.py:0:23
	s_andn2_saveexec_b64 s[0:1], s[0:1]
; %bb.27:
	.loc	1 28 23 is_stmt 1               ; geglu_aot.py:28:23
	v_mul_f32_e32 v18, v14, v14
	v_mov_b32_e32 v19, 0x3ca908c9
	v_fmac_f32_e32 v19, 0xbbbac73d, v18
	v_fmaak_f32 v19, v18, v19, 0xbd5c1c4e
	v_fmaak_f32 v19, v18, v19, 0x3e088382
	;; [unrolled: 1-line block ×3, first 2 shown]
	v_mul_f32_e64 v19, |v14|, v19
	v_fma_f32 v56, v18, v19, |v14|
; %bb.28:                               ; %__ocml_tanh_f32.exit6
	.loc	1 0 23 is_stmt 0                ; geglu_aot.py:0:23
	s_or_b64 exec, exec, s[0:1]
	s_mov_b32 s0, 0x3f200000
	.loc	1 28 23                         ; geglu_aot.py:28:23
	v_cmp_nlt_f32_e64 s[0:1], |v15|, s0
                                        ; implicit-def: $vgpr57
	s_and_saveexec_b64 s[2:3], s[0:1]
	s_xor_b64 s[0:1], exec, s[2:3]
	s_cbranch_execz .LBB0_30
; %bb.29:
	v_add_f32_e64 v18, |v15|, |v15|
	s_mov_b32 s2, 0x3fb8aa3b
	v_mul_f32_e32 v19, 0x3fb8aa3b, v18
	v_fma_f32 v22, v18, s2, -v19
	v_rndne_f32_e32 v19, v19
	v_fmamk_f32 v22, v18, 0x32a5705f, v22
	v_fma_f32 v23, v18, s2, -v19
	v_add_f32_e32 v22, v23, v22
	v_exp_f32_e32 v22, v22
	v_cvt_i32_f32_e32 v19, v19
	s_mov_b32 s2, 0xc2ce8ed0
	v_cmp_ngt_f32_e32 vcc, s2, v18
	s_mov_b32 s2, 0x42b17218
	v_ldexp_f32 v19, v22, v19
	v_cndmask_b32_e32 v19, 0, v19, vcc
	v_mov_b32_e32 v22, 0x7f800000
	v_cmp_nlt_f32_e32 vcc, s2, v18
	s_nop 1
	v_cndmask_b32_e32 v18, v22, v19, vcc
	v_add_f32_e32 v18, 1.0, v18
	v_rcp_f32_e32 v18, v18
	s_nop 0
	v_fma_f32 v57, v18, -2.0, 1.0
.LBB0_30:                               ; %Flow8
	.loc	1 0 23                          ; geglu_aot.py:0:23
	s_andn2_saveexec_b64 s[0:1], s[0:1]
; %bb.31:
	.loc	1 28 23 is_stmt 1               ; geglu_aot.py:28:23
	v_mul_f32_e32 v18, v15, v15
	v_mov_b32_e32 v19, 0x3ca908c9
	v_fmac_f32_e32 v19, 0xbbbac73d, v18
	v_fmaak_f32 v19, v18, v19, 0xbd5c1c4e
	v_fmaak_f32 v19, v18, v19, 0x3e088382
	;; [unrolled: 1-line block ×3, first 2 shown]
	v_mul_f32_e64 v19, |v15|, v19
	v_fma_f32 v57, v18, v19, |v15|
; %bb.32:                               ; %__ocml_tanh_f32.exit7
	.loc	1 0 23 is_stmt 0                ; geglu_aot.py:0:23
	s_or_b64 exec, exec, s[0:1]
	.loc	1 20 60 is_stmt 1               ; geglu_aot.py:20:60
	v_cvt_f32_f16_e32 v17, v17
	v_cvt_f32_f16_e32 v16, v16
	s_mov_b32 s0, 0x3d372713
	s_mov_b32 s2, 0x3f4c422a
                                        ; implicit-def: $vgpr58
	.loc	1 26 22                         ; geglu_aot.py:26:22
	v_pk_mul_f32 v[18:19], v[16:17], v[16:17]
	.loc	1 26 30 is_stmt 0               ; geglu_aot.py:26:30
	s_nop 0
	v_pk_mul_f32 v[18:19], v[18:19], v[16:17]
	.loc	1 27 41 is_stmt 1               ; geglu_aot.py:27:41
	s_nop 0
	v_pk_fma_f32 v[18:19], v[18:19], s[0:1], v[16:17] op_sel_hi:[1,0,1]
	s_mov_b32 s0, 0x3f200000
	.loc	1 27 33 is_stmt 0               ; geglu_aot.py:27:33
	v_pk_mul_f32 v[18:19], v[18:19], s[2:3] op_sel_hi:[1,0]
	.loc	1 28 23 is_stmt 1               ; geglu_aot.py:28:23
	s_nop 0
	v_cmp_nlt_f32_e64 s[0:1], |v18|, s0
	s_and_saveexec_b64 s[2:3], s[0:1]
	s_xor_b64 s[0:1], exec, s[2:3]
	s_cbranch_execz .LBB0_34
; %bb.33:
	v_add_f32_e64 v22, |v18|, |v18|
	s_mov_b32 s2, 0x3fb8aa3b
	v_mul_f32_e32 v23, 0x3fb8aa3b, v22
	v_fma_f32 v26, v22, s2, -v23
	v_rndne_f32_e32 v23, v23
	v_fmamk_f32 v26, v22, 0x32a5705f, v26
	v_fma_f32 v27, v22, s2, -v23
	v_add_f32_e32 v26, v27, v26
	v_exp_f32_e32 v26, v26
	v_cvt_i32_f32_e32 v23, v23
	s_mov_b32 s2, 0xc2ce8ed0
	v_cmp_ngt_f32_e32 vcc, s2, v22
	s_mov_b32 s2, 0x42b17218
	v_ldexp_f32 v23, v26, v23
	v_cndmask_b32_e32 v23, 0, v23, vcc
	v_mov_b32_e32 v26, 0x7f800000
	v_cmp_nlt_f32_e32 vcc, s2, v22
	s_nop 1
	v_cndmask_b32_e32 v22, v26, v23, vcc
	v_add_f32_e32 v22, 1.0, v22
	v_rcp_f32_e32 v22, v22
	s_nop 0
	v_fma_f32 v58, v22, -2.0, 1.0
.LBB0_34:                               ; %Flow7
	.loc	1 0 23 is_stmt 0                ; geglu_aot.py:0:23
	s_andn2_saveexec_b64 s[0:1], s[0:1]
; %bb.35:
	.loc	1 28 23 is_stmt 1               ; geglu_aot.py:28:23
	v_mul_f32_e32 v22, v18, v18
	v_mov_b32_e32 v23, 0x3ca908c9
	v_fmac_f32_e32 v23, 0xbbbac73d, v22
	v_fmaak_f32 v23, v22, v23, 0xbd5c1c4e
	v_fmaak_f32 v23, v22, v23, 0x3e088382
	;; [unrolled: 1-line block ×3, first 2 shown]
	v_mul_f32_e64 v23, |v18|, v23
	v_fma_f32 v58, v22, v23, |v18|
; %bb.36:                               ; %__ocml_tanh_f32.exit8
	.loc	1 0 23 is_stmt 0                ; geglu_aot.py:0:23
	s_or_b64 exec, exec, s[0:1]
	s_mov_b32 s0, 0x3f200000
	.loc	1 28 23                         ; geglu_aot.py:28:23
	v_cmp_nlt_f32_e64 s[0:1], |v19|, s0
                                        ; implicit-def: $vgpr59
	s_and_saveexec_b64 s[2:3], s[0:1]
	s_xor_b64 s[0:1], exec, s[2:3]
	s_cbranch_execz .LBB0_38
; %bb.37:
	v_add_f32_e64 v22, |v19|, |v19|
	s_mov_b32 s2, 0x3fb8aa3b
	v_mul_f32_e32 v23, 0x3fb8aa3b, v22
	v_fma_f32 v26, v22, s2, -v23
	v_rndne_f32_e32 v23, v23
	v_fmamk_f32 v26, v22, 0x32a5705f, v26
	v_fma_f32 v27, v22, s2, -v23
	v_add_f32_e32 v26, v27, v26
	v_exp_f32_e32 v26, v26
	v_cvt_i32_f32_e32 v23, v23
	s_mov_b32 s2, 0xc2ce8ed0
	v_cmp_ngt_f32_e32 vcc, s2, v22
	s_mov_b32 s2, 0x42b17218
	v_ldexp_f32 v23, v26, v23
	v_cndmask_b32_e32 v23, 0, v23, vcc
	v_mov_b32_e32 v26, 0x7f800000
	v_cmp_nlt_f32_e32 vcc, s2, v22
	s_nop 1
	v_cndmask_b32_e32 v22, v26, v23, vcc
	v_add_f32_e32 v22, 1.0, v22
	v_rcp_f32_e32 v22, v22
	s_nop 0
	v_fma_f32 v59, v22, -2.0, 1.0
.LBB0_38:                               ; %Flow6
	.loc	1 0 23                          ; geglu_aot.py:0:23
	s_andn2_saveexec_b64 s[0:1], s[0:1]
; %bb.39:
	.loc	1 28 23 is_stmt 1               ; geglu_aot.py:28:23
	v_mul_f32_e32 v22, v19, v19
	v_mov_b32_e32 v23, 0x3ca908c9
	v_fmac_f32_e32 v23, 0xbbbac73d, v22
	v_fmaak_f32 v23, v22, v23, 0xbd5c1c4e
	v_fmaak_f32 v23, v22, v23, 0x3e088382
	v_fmaak_f32 v23, v22, v23, 0xbeaaaa99
	v_mul_f32_e64 v23, |v19|, v23
	v_fma_f32 v59, v22, v23, |v19|
; %bb.40:                               ; %__ocml_tanh_f32.exit9
	.loc	1 0 23 is_stmt 0                ; geglu_aot.py:0:23
	s_or_b64 exec, exec, s[0:1]
	.loc	1 20 60 is_stmt 1               ; geglu_aot.py:20:60
	v_cvt_f32_f16_e32 v21, v21
	v_cvt_f32_f16_e32 v20, v20
	s_mov_b32 s0, 0x3d372713
	s_mov_b32 s2, 0x3f4c422a
                                        ; implicit-def: $vgpr60
	.loc	1 26 22                         ; geglu_aot.py:26:22
	v_pk_mul_f32 v[22:23], v[20:21], v[20:21]
	.loc	1 26 30 is_stmt 0               ; geglu_aot.py:26:30
	s_nop 0
	v_pk_mul_f32 v[22:23], v[22:23], v[20:21]
	.loc	1 27 41 is_stmt 1               ; geglu_aot.py:27:41
	s_nop 0
	v_pk_fma_f32 v[22:23], v[22:23], s[0:1], v[20:21] op_sel_hi:[1,0,1]
	s_mov_b32 s0, 0x3f200000
	.loc	1 27 33 is_stmt 0               ; geglu_aot.py:27:33
	v_pk_mul_f32 v[22:23], v[22:23], s[2:3] op_sel_hi:[1,0]
	.loc	1 28 23 is_stmt 1               ; geglu_aot.py:28:23
	s_nop 0
	v_cmp_nlt_f32_e64 s[0:1], |v22|, s0
	s_and_saveexec_b64 s[2:3], s[0:1]
	s_xor_b64 s[0:1], exec, s[2:3]
	s_cbranch_execz .LBB0_42
; %bb.41:
	v_add_f32_e64 v26, |v22|, |v22|
	s_mov_b32 s2, 0x3fb8aa3b
	v_mul_f32_e32 v27, 0x3fb8aa3b, v26
	v_fma_f32 v30, v26, s2, -v27
	v_rndne_f32_e32 v27, v27
	v_fmamk_f32 v30, v26, 0x32a5705f, v30
	v_fma_f32 v31, v26, s2, -v27
	v_add_f32_e32 v30, v31, v30
	v_exp_f32_e32 v30, v30
	v_cvt_i32_f32_e32 v27, v27
	s_mov_b32 s2, 0xc2ce8ed0
	v_cmp_ngt_f32_e32 vcc, s2, v26
	s_mov_b32 s2, 0x42b17218
	v_ldexp_f32 v27, v30, v27
	v_cndmask_b32_e32 v27, 0, v27, vcc
	v_mov_b32_e32 v30, 0x7f800000
	v_cmp_nlt_f32_e32 vcc, s2, v26
	s_nop 1
	v_cndmask_b32_e32 v26, v30, v27, vcc
	v_add_f32_e32 v26, 1.0, v26
	v_rcp_f32_e32 v26, v26
	s_nop 0
	v_fma_f32 v60, v26, -2.0, 1.0
.LBB0_42:                               ; %Flow5
	.loc	1 0 23 is_stmt 0                ; geglu_aot.py:0:23
	s_andn2_saveexec_b64 s[0:1], s[0:1]
; %bb.43:
	.loc	1 28 23 is_stmt 1               ; geglu_aot.py:28:23
	v_mul_f32_e32 v26, v22, v22
	v_mov_b32_e32 v27, 0x3ca908c9
	v_fmac_f32_e32 v27, 0xbbbac73d, v26
	v_fmaak_f32 v27, v26, v27, 0xbd5c1c4e
	v_fmaak_f32 v27, v26, v27, 0x3e088382
	;; [unrolled: 1-line block ×3, first 2 shown]
	v_mul_f32_e64 v27, |v22|, v27
	v_fma_f32 v60, v26, v27, |v22|
; %bb.44:                               ; %__ocml_tanh_f32.exit10
	.loc	1 0 23 is_stmt 0                ; geglu_aot.py:0:23
	s_or_b64 exec, exec, s[0:1]
	s_mov_b32 s0, 0x3f200000
	.loc	1 28 23                         ; geglu_aot.py:28:23
	v_cmp_nlt_f32_e64 s[0:1], |v23|, s0
                                        ; implicit-def: $vgpr61
	s_and_saveexec_b64 s[2:3], s[0:1]
	s_xor_b64 s[0:1], exec, s[2:3]
	s_cbranch_execz .LBB0_46
; %bb.45:
	v_add_f32_e64 v26, |v23|, |v23|
	s_mov_b32 s2, 0x3fb8aa3b
	v_mul_f32_e32 v27, 0x3fb8aa3b, v26
	v_fma_f32 v30, v26, s2, -v27
	v_rndne_f32_e32 v27, v27
	v_fmamk_f32 v30, v26, 0x32a5705f, v30
	v_fma_f32 v31, v26, s2, -v27
	v_add_f32_e32 v30, v31, v30
	v_exp_f32_e32 v30, v30
	v_cvt_i32_f32_e32 v27, v27
	s_mov_b32 s2, 0xc2ce8ed0
	v_cmp_ngt_f32_e32 vcc, s2, v26
	s_mov_b32 s2, 0x42b17218
	v_ldexp_f32 v27, v30, v27
	v_cndmask_b32_e32 v27, 0, v27, vcc
	v_mov_b32_e32 v30, 0x7f800000
	v_cmp_nlt_f32_e32 vcc, s2, v26
	s_nop 1
	v_cndmask_b32_e32 v26, v30, v27, vcc
	v_add_f32_e32 v26, 1.0, v26
	v_rcp_f32_e32 v26, v26
	s_nop 0
	v_fma_f32 v61, v26, -2.0, 1.0
.LBB0_46:                               ; %Flow4
	.loc	1 0 23                          ; geglu_aot.py:0:23
	s_andn2_saveexec_b64 s[0:1], s[0:1]
; %bb.47:
	.loc	1 28 23 is_stmt 1               ; geglu_aot.py:28:23
	v_mul_f32_e32 v26, v23, v23
	v_mov_b32_e32 v27, 0x3ca908c9
	v_fmac_f32_e32 v27, 0xbbbac73d, v26
	v_fmaak_f32 v27, v26, v27, 0xbd5c1c4e
	v_fmaak_f32 v27, v26, v27, 0x3e088382
	;; [unrolled: 1-line block ×3, first 2 shown]
	v_mul_f32_e64 v27, |v23|, v27
	v_fma_f32 v61, v26, v27, |v23|
; %bb.48:                               ; %__ocml_tanh_f32.exit11
	.loc	1 0 23 is_stmt 0                ; geglu_aot.py:0:23
	s_or_b64 exec, exec, s[0:1]
	.loc	1 20 60 is_stmt 1               ; geglu_aot.py:20:60
	v_cvt_f32_f16_e32 v25, v25
	v_cvt_f32_f16_e32 v24, v24
	s_mov_b32 s0, 0x3d372713
	s_mov_b32 s2, 0x3f4c422a
                                        ; implicit-def: $vgpr62
	.loc	1 26 22                         ; geglu_aot.py:26:22
	v_pk_mul_f32 v[26:27], v[24:25], v[24:25]
	.loc	1 26 30 is_stmt 0               ; geglu_aot.py:26:30
	s_nop 0
	v_pk_mul_f32 v[26:27], v[26:27], v[24:25]
	.loc	1 27 41 is_stmt 1               ; geglu_aot.py:27:41
	s_nop 0
	v_pk_fma_f32 v[26:27], v[26:27], s[0:1], v[24:25] op_sel_hi:[1,0,1]
	s_mov_b32 s0, 0x3f200000
	.loc	1 27 33 is_stmt 0               ; geglu_aot.py:27:33
	v_pk_mul_f32 v[26:27], v[26:27], s[2:3] op_sel_hi:[1,0]
	.loc	1 28 23 is_stmt 1               ; geglu_aot.py:28:23
	s_nop 0
	v_cmp_nlt_f32_e64 s[0:1], |v26|, s0
	s_and_saveexec_b64 s[2:3], s[0:1]
	s_xor_b64 s[0:1], exec, s[2:3]
	s_cbranch_execz .LBB0_50
; %bb.49:
	v_add_f32_e64 v30, |v26|, |v26|
	s_mov_b32 s2, 0x3fb8aa3b
	v_mul_f32_e32 v31, 0x3fb8aa3b, v30
	v_fma_f32 v62, v30, s2, -v31
	v_rndne_f32_e32 v31, v31
	v_fmamk_f32 v62, v30, 0x32a5705f, v62
	v_fma_f32 v63, v30, s2, -v31
	v_add_f32_e32 v62, v63, v62
	v_exp_f32_e32 v62, v62
	v_cvt_i32_f32_e32 v31, v31
	s_mov_b32 s2, 0xc2ce8ed0
	v_cmp_ngt_f32_e32 vcc, s2, v30
	s_mov_b32 s2, 0x42b17218
	v_ldexp_f32 v31, v62, v31
	v_cndmask_b32_e32 v31, 0, v31, vcc
	v_mov_b32_e32 v62, 0x7f800000
	v_cmp_nlt_f32_e32 vcc, s2, v30
	s_nop 1
	v_cndmask_b32_e32 v30, v62, v31, vcc
	v_add_f32_e32 v30, 1.0, v30
	v_rcp_f32_e32 v30, v30
	s_nop 0
	v_fma_f32 v62, v30, -2.0, 1.0
.LBB0_50:                               ; %Flow3
	.loc	1 0 23 is_stmt 0                ; geglu_aot.py:0:23
	s_andn2_saveexec_b64 s[0:1], s[0:1]
; %bb.51:
	.loc	1 28 23 is_stmt 1               ; geglu_aot.py:28:23
	v_mul_f32_e32 v30, v26, v26
	v_mov_b32_e32 v31, 0x3ca908c9
	v_fmac_f32_e32 v31, 0xbbbac73d, v30
	v_fmaak_f32 v31, v30, v31, 0xbd5c1c4e
	v_fmaak_f32 v31, v30, v31, 0x3e088382
	;; [unrolled: 1-line block ×3, first 2 shown]
	v_mul_f32_e64 v31, |v26|, v31
	v_fma_f32 v62, v30, v31, |v26|
; %bb.52:                               ; %__ocml_tanh_f32.exit12
	.loc	1 0 23 is_stmt 0                ; geglu_aot.py:0:23
	s_or_b64 exec, exec, s[0:1]
	s_mov_b32 s0, 0x3f200000
	.loc	1 28 23                         ; geglu_aot.py:28:23
	v_cmp_nlt_f32_e64 s[0:1], |v27|, s0
                                        ; implicit-def: $vgpr63
	s_and_saveexec_b64 s[2:3], s[0:1]
	s_xor_b64 s[0:1], exec, s[2:3]
	s_cbranch_execz .LBB0_54
; %bb.53:
	v_add_f32_e64 v30, |v27|, |v27|
	s_mov_b32 s2, 0x3fb8aa3b
	v_mul_f32_e32 v31, 0x3fb8aa3b, v30
	v_fma_f32 v63, v30, s2, -v31
	v_rndne_f32_e32 v31, v31
	v_fmamk_f32 v63, v30, 0x32a5705f, v63
	v_fma_f32 v64, v30, s2, -v31
	v_add_f32_e32 v63, v64, v63
	v_exp_f32_e32 v63, v63
	v_cvt_i32_f32_e32 v31, v31
	s_mov_b32 s2, 0xc2ce8ed0
	v_cmp_ngt_f32_e32 vcc, s2, v30
	s_mov_b32 s2, 0x42b17218
	v_ldexp_f32 v31, v63, v31
	v_cndmask_b32_e32 v31, 0, v31, vcc
	v_mov_b32_e32 v63, 0x7f800000
	v_cmp_nlt_f32_e32 vcc, s2, v30
	s_nop 1
	v_cndmask_b32_e32 v30, v63, v31, vcc
	v_add_f32_e32 v30, 1.0, v30
	v_rcp_f32_e32 v30, v30
	s_nop 0
	v_fma_f32 v63, v30, -2.0, 1.0
.LBB0_54:                               ; %Flow2
	.loc	1 0 23                          ; geglu_aot.py:0:23
	s_andn2_saveexec_b64 s[0:1], s[0:1]
; %bb.55:
	.loc	1 28 23 is_stmt 1               ; geglu_aot.py:28:23
	v_mul_f32_e32 v30, v27, v27
	v_mov_b32_e32 v31, 0x3ca908c9
	v_fmac_f32_e32 v31, 0xbbbac73d, v30
	v_fmaak_f32 v31, v30, v31, 0xbd5c1c4e
	v_fmaak_f32 v31, v30, v31, 0x3e088382
	;; [unrolled: 1-line block ×3, first 2 shown]
	v_mul_f32_e64 v31, |v27|, v31
	v_fma_f32 v63, v30, v31, |v27|
; %bb.56:                               ; %__ocml_tanh_f32.exit13
	.loc	1 0 23 is_stmt 0                ; geglu_aot.py:0:23
	s_or_b64 exec, exec, s[0:1]
	.loc	1 20 60 is_stmt 1               ; geglu_aot.py:20:60
	v_cvt_f32_f16_e32 v29, v29
	v_cvt_f32_f16_e32 v28, v28
	s_mov_b32 s0, 0x3d372713
	s_mov_b32 s2, 0x3f4c422a
                                        ; implicit-def: $vgpr78
	.loc	1 26 22                         ; geglu_aot.py:26:22
	v_pk_mul_f32 v[30:31], v[28:29], v[28:29]
	.loc	1 26 30 is_stmt 0               ; geglu_aot.py:26:30
	s_nop 0
	v_pk_mul_f32 v[30:31], v[30:31], v[28:29]
	.loc	1 27 41 is_stmt 1               ; geglu_aot.py:27:41
	s_nop 0
	v_pk_fma_f32 v[30:31], v[30:31], s[0:1], v[28:29] op_sel_hi:[1,0,1]
	s_mov_b32 s0, 0x3f200000
	.loc	1 27 33 is_stmt 0               ; geglu_aot.py:27:33
	v_pk_mul_f32 v[30:31], v[30:31], s[2:3] op_sel_hi:[1,0]
	.loc	1 28 23 is_stmt 1               ; geglu_aot.py:28:23
	s_nop 0
	v_cmp_nlt_f32_e64 s[0:1], |v30|, s0
	s_and_saveexec_b64 s[2:3], s[0:1]
	s_xor_b64 s[0:1], exec, s[2:3]
	s_cbranch_execz .LBB0_58
; %bb.57:
	v_add_f32_e64 v64, |v30|, |v30|
	s_mov_b32 s2, 0x3fb8aa3b
	v_mul_f32_e32 v65, 0x3fb8aa3b, v64
	v_fma_f32 v66, v64, s2, -v65
	v_rndne_f32_e32 v65, v65
	v_fmamk_f32 v66, v64, 0x32a5705f, v66
	v_fma_f32 v67, v64, s2, -v65
	v_add_f32_e32 v66, v67, v66
	v_exp_f32_e32 v66, v66
	v_cvt_i32_f32_e32 v65, v65
	s_mov_b32 s2, 0xc2ce8ed0
	v_cmp_ngt_f32_e32 vcc, s2, v64
	s_mov_b32 s2, 0x42b17218
	v_ldexp_f32 v65, v66, v65
	v_cndmask_b32_e32 v65, 0, v65, vcc
	v_mov_b32_e32 v66, 0x7f800000
	v_cmp_nlt_f32_e32 vcc, s2, v64
	s_nop 1
	v_cndmask_b32_e32 v64, v66, v65, vcc
	v_add_f32_e32 v64, 1.0, v64
	v_rcp_f32_e32 v64, v64
	s_nop 0
	v_fma_f32 v78, v64, -2.0, 1.0
.LBB0_58:                               ; %Flow1
	.loc	1 0 23 is_stmt 0                ; geglu_aot.py:0:23
	s_andn2_saveexec_b64 s[0:1], s[0:1]
; %bb.59:
	.loc	1 28 23 is_stmt 1               ; geglu_aot.py:28:23
	v_mul_f32_e32 v64, v30, v30
	v_mov_b32_e32 v65, 0x3ca908c9
	v_fmac_f32_e32 v65, 0xbbbac73d, v64
	v_fmaak_f32 v65, v64, v65, 0xbd5c1c4e
	v_fmaak_f32 v65, v64, v65, 0x3e088382
	;; [unrolled: 1-line block ×3, first 2 shown]
	v_mul_f32_e64 v65, |v30|, v65
	v_fma_f32 v78, v64, v65, |v30|
; %bb.60:                               ; %__ocml_tanh_f32.exit14
	.loc	1 0 23 is_stmt 0                ; geglu_aot.py:0:23
	s_or_b64 exec, exec, s[0:1]
	s_mov_b32 s0, 0x3f200000
	.loc	1 28 23                         ; geglu_aot.py:28:23
	v_cmp_nlt_f32_e64 s[0:1], |v31|, s0
                                        ; implicit-def: $vgpr79
	s_and_saveexec_b64 s[2:3], s[0:1]
	s_xor_b64 s[0:1], exec, s[2:3]
	s_cbranch_execz .LBB0_62
; %bb.61:
	v_add_f32_e64 v64, |v31|, |v31|
	s_mov_b32 s2, 0x3fb8aa3b
	v_mul_f32_e32 v65, 0x3fb8aa3b, v64
	v_fma_f32 v66, v64, s2, -v65
	v_rndne_f32_e32 v65, v65
	v_fmamk_f32 v66, v64, 0x32a5705f, v66
	v_fma_f32 v67, v64, s2, -v65
	v_add_f32_e32 v66, v67, v66
	v_exp_f32_e32 v66, v66
	v_cvt_i32_f32_e32 v65, v65
	s_mov_b32 s2, 0xc2ce8ed0
	v_cmp_ngt_f32_e32 vcc, s2, v64
	s_mov_b32 s2, 0x42b17218
	v_ldexp_f32 v65, v66, v65
	v_cndmask_b32_e32 v65, 0, v65, vcc
	v_mov_b32_e32 v66, 0x7f800000
	v_cmp_nlt_f32_e32 vcc, s2, v64
	s_nop 1
	v_cndmask_b32_e32 v64, v66, v65, vcc
	v_add_f32_e32 v64, 1.0, v64
	v_rcp_f32_e32 v64, v64
	s_nop 0
	v_fma_f32 v79, v64, -2.0, 1.0
.LBB0_62:                               ; %Flow
	.loc	1 0 23                          ; geglu_aot.py:0:23
	s_or_saveexec_b64 s[0:1], s[0:1]
	v_or_b32_e32 v70, 0x200, v32
	v_or_b32_e32 v71, 0x400, v32
	;; [unrolled: 1-line block ×14, first 2 shown]
	s_xor_b64 exec, exec, s[0:1]
; %bb.63:
	.loc	1 28 23 is_stmt 1               ; geglu_aot.py:28:23
	v_mul_f32_e32 v79, v31, v31
	v_mov_b32_e32 v80, 0x3ca908c9
	v_fmac_f32_e32 v80, 0xbbbac73d, v79
	v_fmaak_f32 v80, v79, v80, 0xbd5c1c4e
	v_fmaak_f32 v80, v79, v80, 0x3e088382
	;; [unrolled: 1-line block ×3, first 2 shown]
	v_mul_f32_e64 v80, |v31|, v80
	v_fma_f32 v79, v79, v80, |v31|
; %bb.64:                               ; %__ocml_tanh_f32.exit15
	.loc	1 0 23 is_stmt 0                ; geglu_aot.py:0:23
	s_or_b64 exec, exec, s[0:1]
	.loc	1 28 23                         ; geglu_aot.py:28:23
	s_brev_b32 s0, -2
	v_bfi_b32 v3, s0, v51, v3
	v_bfi_b32 v2, s0, v50, v2
	;; [unrolled: 1-line block ×4, first 2 shown]
	.loc	1 29 20 is_stmt 1               ; geglu_aot.py:29:20
	v_pk_mul_f32 v[0:1], v[0:1], 0.5 op_sel_hi:[1,0]
	.loc	1 29 33 is_stmt 0               ; geglu_aot.py:29:33
	v_pk_add_f32 v[2:3], v[2:3], 1.0 op_sel_hi:[1,0]
	.loc	1 28 23 is_stmt 1               ; geglu_aot.py:28:23
	v_bfi_b32 v15, s0, v57, v15
	v_bfi_b32 v14, s0, v56, v14
	v_bfi_b32 v11, s0, v55, v11
	v_bfi_b32 v10, s0, v54, v10
	.loc	1 29 20                         ; geglu_aot.py:29:20
	v_pk_mul_f32 v[4:5], v[4:5], 0.5 op_sel_hi:[1,0]
	.loc	1 29 29 is_stmt 0               ; geglu_aot.py:29:29
	v_pk_mul_f32 v[0:1], v[0:1], v[2:3]
	.loc	1 29 33                         ; geglu_aot.py:29:33
	v_pk_add_f32 v[2:3], v[6:7], 1.0 op_sel_hi:[1,0]
	.loc	1 28 23 is_stmt 1               ; geglu_aot.py:28:23
	v_bfi_b32 v31, s0, v79, v31
	v_bfi_b32 v30, s0, v78, v30
	;; [unrolled: 1-line block ×8, first 2 shown]
	.loc	1 29 20                         ; geglu_aot.py:29:20
	v_pk_mul_f32 v[8:9], v[8:9], 0.5 op_sel_hi:[1,0]
	v_pk_mul_f32 v[12:13], v[12:13], 0.5 op_sel_hi:[1,0]
	.loc	1 29 29 is_stmt 0               ; geglu_aot.py:29:29
	v_pk_mul_f32 v[2:3], v[4:5], v[2:3]
	.loc	1 29 33                         ; geglu_aot.py:29:33
	v_pk_add_f32 v[4:5], v[10:11], 1.0 op_sel_hi:[1,0]
	v_pk_add_f32 v[6:7], v[14:15], 1.0 op_sel_hi:[1,0]
	.loc	1 16 9 is_stmt 1                ; geglu_aot.py:16:9
	s_add_u32 s0, s6, s8
	.loc	1 29 20                         ; geglu_aot.py:29:20
	v_pk_mul_f32 v[16:17], v[16:17], 0.5 op_sel_hi:[1,0]
	v_pk_mul_f32 v[20:21], v[20:21], 0.5 op_sel_hi:[1,0]
	;; [unrolled: 1-line block ×4, first 2 shown]
	.loc	1 29 29 is_stmt 0               ; geglu_aot.py:29:29
	v_pk_mul_f32 v[4:5], v[8:9], v[4:5]
	v_pk_mul_f32 v[6:7], v[12:13], v[6:7]
	.loc	1 29 33                         ; geglu_aot.py:29:33
	v_pk_add_f32 v[8:9], v[18:19], 1.0 op_sel_hi:[1,0]
	v_pk_add_f32 v[10:11], v[22:23], 1.0 op_sel_hi:[1,0]
	;; [unrolled: 1-line block ×4, first 2 shown]
	.loc	1 16 9 is_stmt 1                ; geglu_aot.py:16:9
	s_addc_u32 s1, s7, s9
	.loc	1 29 29                         ; geglu_aot.py:29:29
	v_pk_mul_f32 v[8:9], v[16:17], v[8:9]
	v_pk_mul_f32 v[10:11], v[20:21], v[10:11]
	;; [unrolled: 1-line block ×4, first 2 shown]
	.loc	1 30 25                         ; geglu_aot.py:30:25
	v_cvt_pk_f16_f32 v0, v0, v1
	v_cvt_pk_f16_f32 v1, v2, v3
	;; [unrolled: 1-line block ×8, first 2 shown]
	.loc	1 30 40 is_stmt 0               ; geglu_aot.py:30:40
	v_mul_f16_e32 v8, v0, v34
	.loc	1 31 30 is_stmt 1               ; geglu_aot.py:31:30
	s_and_b32 s1, s1, 0xffff
	s_mov_b32 s3, 0x27000
	s_mov_b32 s2, 0x7ffffffe
	.loc	1 30 40                         ; geglu_aot.py:30:40
	v_mul_f16_sdwa v0, v0, v35 dst_sel:DWORD dst_unused:UNUSED_PAD src0_sel:WORD_1 src1_sel:DWORD
	v_mul_f16_e32 v9, v1, v36
	v_mul_f16_sdwa v1, v1, v37 dst_sel:DWORD dst_unused:UNUSED_PAD src0_sel:WORD_1 src1_sel:DWORD
	v_mul_f16_e32 v10, v2, v38
	;; [unrolled: 2-line block ×7, first 2 shown]
	v_mul_f16_sdwa v7, v7, v49 dst_sel:DWORD dst_unused:UNUSED_PAD src0_sel:WORD_1 src1_sel:DWORD
	.loc	1 31 30                         ; geglu_aot.py:31:30
	buffer_store_short v8, v32, s[0:3], 0 offen
	buffer_store_short v0, v70, s[0:3], 0 offen
	;; [unrolled: 1-line block ×16, first 2 shown]
	.loc	1 31 4 is_stmt 0                ; geglu_aot.py:31:4
	s_endpgm
.Ltmp2:
	.section	.rodata,"a",@progbits
	.p2align	6, 0x0
	.amdhsa_kernel _geglu_tanh_forward_kernel
		.amdhsa_group_segment_fixed_size 0
		.amdhsa_private_segment_fixed_size 0
		.amdhsa_kernarg_size 48
		.amdhsa_user_sgpr_count 14
		.amdhsa_user_sgpr_dispatch_ptr 0
		.amdhsa_user_sgpr_queue_ptr 0
		.amdhsa_user_sgpr_kernarg_segment_ptr 1
		.amdhsa_user_sgpr_dispatch_id 0
		.amdhsa_user_sgpr_kernarg_preload_length 12
		.amdhsa_user_sgpr_kernarg_preload_offset 0
		.amdhsa_user_sgpr_private_segment_size 0
		.amdhsa_uses_dynamic_stack 0
		.amdhsa_enable_private_segment 0
		.amdhsa_system_sgpr_workgroup_id_x 1
		.amdhsa_system_sgpr_workgroup_id_y 0
		.amdhsa_system_sgpr_workgroup_id_z 0
		.amdhsa_system_sgpr_workgroup_info 0
		.amdhsa_system_vgpr_workitem_id 0
		.amdhsa_next_free_vgpr 81
		.amdhsa_next_free_sgpr 16
		.amdhsa_accum_offset 84
		.amdhsa_reserve_vcc 1
		.amdhsa_reserve_xnack_mask 1
		.amdhsa_float_round_mode_32 0
		.amdhsa_float_round_mode_16_64 0
		.amdhsa_float_denorm_mode_32 3
		.amdhsa_float_denorm_mode_16_64 3
		.amdhsa_dx10_clamp 1
		.amdhsa_ieee_mode 1
		.amdhsa_fp16_overflow 0
		.amdhsa_tg_split 0
		.amdhsa_exception_fp_ieee_invalid_op 0
		.amdhsa_exception_fp_denorm_src 0
		.amdhsa_exception_fp_ieee_div_zero 0
		.amdhsa_exception_fp_ieee_overflow 0
		.amdhsa_exception_fp_ieee_underflow 0
		.amdhsa_exception_fp_ieee_inexact 0
		.amdhsa_exception_int_div_zero 0
	.end_amdhsa_kernel
	.text
.Lfunc_end0:
	.size	_geglu_tanh_forward_kernel, .Lfunc_end0-_geglu_tanh_forward_kernel
	.cfi_endproc
                                        ; -- End function
	.set _geglu_tanh_forward_kernel.num_vgpr, 81
	.set _geglu_tanh_forward_kernel.num_agpr, 0
	.set _geglu_tanh_forward_kernel.numbered_sgpr, 16
	.set _geglu_tanh_forward_kernel.num_named_barrier, 0
	.set _geglu_tanh_forward_kernel.private_seg_size, 0
	.set _geglu_tanh_forward_kernel.uses_vcc, 1
	.set _geglu_tanh_forward_kernel.uses_flat_scratch, 0
	.set _geglu_tanh_forward_kernel.has_dyn_sized_stack, 0
	.set _geglu_tanh_forward_kernel.has_recursion, 0
	.set _geglu_tanh_forward_kernel.has_indirect_call, 0
	.section	.AMDGPU.csdata,"",@progbits
; Kernel info:
; codeLenInByte = 5652
; TotalNumSgprs: 22
; NumVgprs: 81
; NumAgprs: 0
; TotalNumVgprs: 81
; ScratchSize: 0
; MemoryBound: 0
; FloatMode: 240
; IeeeMode: 1
; LDSByteSize: 0 bytes/workgroup (compile time only)
; SGPRBlocks: 2
; VGPRBlocks: 10
; NumSGPRsForWavesPerEU: 22
; NumVGPRsForWavesPerEU: 81
; AccumOffset: 84
; Occupancy: 5
; WaveLimiterHint : 0
; COMPUTE_PGM_RSRC2:SCRATCH_EN: 0
; COMPUTE_PGM_RSRC2:USER_SGPR: 14
; COMPUTE_PGM_RSRC2:TRAP_HANDLER: 0
; COMPUTE_PGM_RSRC2:TGID_X_EN: 1
; COMPUTE_PGM_RSRC2:TGID_Y_EN: 0
; COMPUTE_PGM_RSRC2:TGID_Z_EN: 0
; COMPUTE_PGM_RSRC2:TIDIG_COMP_CNT: 0
; COMPUTE_PGM_RSRC3_GFX90A:ACCUM_OFFSET: 20
; COMPUTE_PGM_RSRC3_GFX90A:TG_SPLIT: 0
	.text
	.p2alignl 6, 3212836864
	.fill 256, 4, 3212836864
	.section	.AMDGPU.gpr_maximums,"",@progbits
	.set amdgpu.max_num_vgpr, 0
	.set amdgpu.max_num_agpr, 0
	.set amdgpu.max_num_sgpr, 0
	.set amdgpu.max_num_named_barrier, 0
	.text
	.section	.debug_abbrev,"",@progbits
	.byte	1                               ; Abbreviation Code
	.byte	17                              ; DW_TAG_compile_unit
	.byte	0                               ; DW_CHILDREN_no
	.byte	37                              ; DW_AT_producer
	.byte	14                              ; DW_FORM_strp
	.byte	19                              ; DW_AT_language
	.byte	5                               ; DW_FORM_data2
	.byte	3                               ; DW_AT_name
	.byte	14                              ; DW_FORM_strp
	.byte	16                              ; DW_AT_stmt_list
	.byte	23                              ; DW_FORM_sec_offset
	.byte	27                              ; DW_AT_comp_dir
	.byte	14                              ; DW_FORM_strp
	.byte	17                              ; DW_AT_low_pc
	.byte	1                               ; DW_FORM_addr
	.byte	18                              ; DW_AT_high_pc
	.byte	6                               ; DW_FORM_data4
	.byte	0                               ; EOM(1)
	.byte	0                               ; EOM(2)
	;; [unrolled: 1-line block ×3, first 2 shown]
	.section	.debug_info,"",@progbits
.Lcu_begin0:
	.long	.Ldebug_info_end0-.Ldebug_info_start0 ; Length of Unit
.Ldebug_info_start0:
	.short	4                               ; DWARF version number
	.long	.debug_abbrev                   ; Offset Into Abbrev. Section
	.byte	8                               ; Address Size (in bytes)
	.byte	1                               ; Abbrev [1] 0xb:0x1f DW_TAG_compile_unit
	.long	.Linfo_string0                  ; DW_AT_producer
	.short	2                               ; DW_AT_language
	.long	.Linfo_string1                  ; DW_AT_name
	.long	.Lline_table_start0             ; DW_AT_stmt_list
	.long	.Linfo_string2                  ; DW_AT_comp_dir
	.quad	.Lfunc_begin0                   ; DW_AT_low_pc
	.long	.Lfunc_end0-.Lfunc_begin0       ; DW_AT_high_pc
.Ldebug_info_end0:
	.section	.debug_str,"MS",@progbits,1
.Linfo_string0:
	.asciz	"triton"                        ; string offset=0
.Linfo_string1:
	.asciz	"geglu_aot.py"                  ; string offset=7
.Linfo_string2:
	.asciz	"/root/src/amdgpu-assembly/repos/linkedin__Liger-Kernel/triton_aot_kernels" ; string offset=20
	.section	".note.GNU-stack","",@progbits
	.amdgpu_metadata
---
amdhsa.kernels:
  - .agpr_count:     0
    .args:
      - .address_space:  global
        .offset:         0
        .size:           8
        .value_kind:     global_buffer
      - .address_space:  global
        .offset:         8
        .size:           8
        .value_kind:     global_buffer
      - .address_space:  global
        .offset:         16
        .size:           8
        .value_kind:     global_buffer
      - .offset:         24
        .size:           4
        .value_kind:     by_value
      - .address_space:  global
        .offset:         32
        .size:           8
        .value_kind:     global_buffer
      - .address_space:  global
        .offset:         40
        .size:           8
        .value_kind:     global_buffer
    .group_segment_fixed_size: 0
    .kernarg_segment_align: 8
    .kernarg_segment_size: 48
    .max_flat_workgroup_size: 256
    .name:           _geglu_tanh_forward_kernel
    .private_segment_fixed_size: 0
    .sgpr_count:     22
    .sgpr_spill_count: 0
    .symbol:         _geglu_tanh_forward_kernel.kd
    .uniform_work_group_size: 1
    .uses_dynamic_stack: false
    .vgpr_count:     81
    .vgpr_spill_count: 0
    .wavefront_size: 64
amdhsa.target:   amdgcn-amd-amdhsa--gfx950
amdhsa.version:
  - 1
  - 2
...

	.end_amdgpu_metadata
	.section	.debug_line,"",@progbits
.Lline_table_start0:
